;; amdgpu-corpus repo=ROCm/rocFFT kind=compiled arch=gfx1201 opt=O3
	.text
	.amdgcn_target "amdgcn-amd-amdhsa--gfx1201"
	.amdhsa_code_object_version 6
	.protected	fft_rtc_back_len1386_factors_2_7_3_11_3_wgs_231_tpt_231_halfLds_dp_ip_CI_unitstride_sbrr_dirReg ; -- Begin function fft_rtc_back_len1386_factors_2_7_3_11_3_wgs_231_tpt_231_halfLds_dp_ip_CI_unitstride_sbrr_dirReg
	.globl	fft_rtc_back_len1386_factors_2_7_3_11_3_wgs_231_tpt_231_halfLds_dp_ip_CI_unitstride_sbrr_dirReg
	.p2align	8
	.type	fft_rtc_back_len1386_factors_2_7_3_11_3_wgs_231_tpt_231_halfLds_dp_ip_CI_unitstride_sbrr_dirReg,@function
fft_rtc_back_len1386_factors_2_7_3_11_3_wgs_231_tpt_231_halfLds_dp_ip_CI_unitstride_sbrr_dirReg: ; @fft_rtc_back_len1386_factors_2_7_3_11_3_wgs_231_tpt_231_halfLds_dp_ip_CI_unitstride_sbrr_dirReg
; %bb.0:
	s_clause 0x2
	s_load_b128 s[4:7], s[0:1], 0x0
	s_load_b64 s[8:9], s[0:1], 0x50
	s_load_b64 s[10:11], s[0:1], 0x18
	v_mul_u32_u24_e32 v1, 0x11c, v0
	v_mov_b32_e32 v3, 0
	s_delay_alu instid0(VALU_DEP_2) | instskip(NEXT) | instid1(VALU_DEP_1)
	v_lshrrev_b32_e32 v1, 16, v1
	v_add_nc_u32_e32 v5, ttmp9, v1
	v_mov_b32_e32 v1, 0
	v_mov_b32_e32 v2, 0
	;; [unrolled: 1-line block ×3, first 2 shown]
	s_wait_kmcnt 0x0
	v_cmp_lt_u64_e64 s2, s[6:7], 2
	s_delay_alu instid0(VALU_DEP_1)
	s_and_b32 vcc_lo, exec_lo, s2
	s_cbranch_vccnz .LBB0_8
; %bb.1:
	s_load_b64 s[2:3], s[0:1], 0x10
	v_mov_b32_e32 v1, 0
	v_mov_b32_e32 v2, 0
	s_add_nc_u64 s[12:13], s[10:11], 8
	s_mov_b64 s[14:15], 1
	s_wait_kmcnt 0x0
	s_add_nc_u64 s[16:17], s[2:3], 8
	s_mov_b32 s3, 0
.LBB0_2:                                ; =>This Inner Loop Header: Depth=1
	s_load_b64 s[18:19], s[16:17], 0x0
                                        ; implicit-def: $vgpr7_vgpr8
	s_mov_b32 s2, exec_lo
	s_wait_kmcnt 0x0
	v_or_b32_e32 v4, s19, v6
	s_delay_alu instid0(VALU_DEP_1)
	v_cmpx_ne_u64_e32 0, v[3:4]
	s_wait_alu 0xfffe
	s_xor_b32 s20, exec_lo, s2
	s_cbranch_execz .LBB0_4
; %bb.3:                                ;   in Loop: Header=BB0_2 Depth=1
	s_cvt_f32_u32 s2, s18
	s_cvt_f32_u32 s21, s19
	s_sub_nc_u64 s[24:25], 0, s[18:19]
	s_wait_alu 0xfffe
	s_delay_alu instid0(SALU_CYCLE_1) | instskip(SKIP_1) | instid1(SALU_CYCLE_2)
	s_fmamk_f32 s2, s21, 0x4f800000, s2
	s_wait_alu 0xfffe
	v_s_rcp_f32 s2, s2
	s_delay_alu instid0(TRANS32_DEP_1) | instskip(SKIP_1) | instid1(SALU_CYCLE_2)
	s_mul_f32 s2, s2, 0x5f7ffffc
	s_wait_alu 0xfffe
	s_mul_f32 s21, s2, 0x2f800000
	s_wait_alu 0xfffe
	s_delay_alu instid0(SALU_CYCLE_2) | instskip(SKIP_1) | instid1(SALU_CYCLE_2)
	s_trunc_f32 s21, s21
	s_wait_alu 0xfffe
	s_fmamk_f32 s2, s21, 0xcf800000, s2
	s_cvt_u32_f32 s23, s21
	s_wait_alu 0xfffe
	s_delay_alu instid0(SALU_CYCLE_1) | instskip(SKIP_1) | instid1(SALU_CYCLE_2)
	s_cvt_u32_f32 s22, s2
	s_wait_alu 0xfffe
	s_mul_u64 s[26:27], s[24:25], s[22:23]
	s_wait_alu 0xfffe
	s_mul_hi_u32 s29, s22, s27
	s_mul_i32 s28, s22, s27
	s_mul_hi_u32 s2, s22, s26
	s_mul_i32 s30, s23, s26
	s_wait_alu 0xfffe
	s_add_nc_u64 s[28:29], s[2:3], s[28:29]
	s_mul_hi_u32 s21, s23, s26
	s_mul_hi_u32 s31, s23, s27
	s_add_co_u32 s2, s28, s30
	s_wait_alu 0xfffe
	s_add_co_ci_u32 s2, s29, s21
	s_mul_i32 s26, s23, s27
	s_add_co_ci_u32 s27, s31, 0
	s_wait_alu 0xfffe
	s_add_nc_u64 s[26:27], s[2:3], s[26:27]
	s_wait_alu 0xfffe
	v_add_co_u32 v4, s2, s22, s26
	s_delay_alu instid0(VALU_DEP_1) | instskip(SKIP_1) | instid1(VALU_DEP_1)
	s_cmp_lg_u32 s2, 0
	s_add_co_ci_u32 s23, s23, s27
	v_readfirstlane_b32 s22, v4
	s_wait_alu 0xfffe
	s_delay_alu instid0(VALU_DEP_1)
	s_mul_u64 s[24:25], s[24:25], s[22:23]
	s_wait_alu 0xfffe
	s_mul_hi_u32 s27, s22, s25
	s_mul_i32 s26, s22, s25
	s_mul_hi_u32 s2, s22, s24
	s_mul_i32 s28, s23, s24
	s_wait_alu 0xfffe
	s_add_nc_u64 s[26:27], s[2:3], s[26:27]
	s_mul_hi_u32 s21, s23, s24
	s_mul_hi_u32 s22, s23, s25
	s_wait_alu 0xfffe
	s_add_co_u32 s2, s26, s28
	s_add_co_ci_u32 s2, s27, s21
	s_mul_i32 s24, s23, s25
	s_add_co_ci_u32 s25, s22, 0
	s_wait_alu 0xfffe
	s_add_nc_u64 s[24:25], s[2:3], s[24:25]
	s_wait_alu 0xfffe
	v_add_co_u32 v4, s2, v4, s24
	s_delay_alu instid0(VALU_DEP_1) | instskip(SKIP_1) | instid1(VALU_DEP_1)
	s_cmp_lg_u32 s2, 0
	s_add_co_ci_u32 s2, s23, s25
	v_mul_hi_u32 v13, v5, v4
	s_wait_alu 0xfffe
	v_mad_co_u64_u32 v[7:8], null, v5, s2, 0
	v_mad_co_u64_u32 v[9:10], null, v6, v4, 0
	;; [unrolled: 1-line block ×3, first 2 shown]
	s_delay_alu instid0(VALU_DEP_3) | instskip(SKIP_1) | instid1(VALU_DEP_4)
	v_add_co_u32 v4, vcc_lo, v13, v7
	s_wait_alu 0xfffd
	v_add_co_ci_u32_e32 v7, vcc_lo, 0, v8, vcc_lo
	s_delay_alu instid0(VALU_DEP_2) | instskip(SKIP_1) | instid1(VALU_DEP_2)
	v_add_co_u32 v4, vcc_lo, v4, v9
	s_wait_alu 0xfffd
	v_add_co_ci_u32_e32 v4, vcc_lo, v7, v10, vcc_lo
	s_wait_alu 0xfffd
	v_add_co_ci_u32_e32 v7, vcc_lo, 0, v12, vcc_lo
	s_delay_alu instid0(VALU_DEP_2) | instskip(SKIP_1) | instid1(VALU_DEP_2)
	v_add_co_u32 v4, vcc_lo, v4, v11
	s_wait_alu 0xfffd
	v_add_co_ci_u32_e32 v9, vcc_lo, 0, v7, vcc_lo
	s_delay_alu instid0(VALU_DEP_2) | instskip(SKIP_1) | instid1(VALU_DEP_3)
	v_mul_lo_u32 v10, s19, v4
	v_mad_co_u64_u32 v[7:8], null, s18, v4, 0
	v_mul_lo_u32 v11, s18, v9
	s_delay_alu instid0(VALU_DEP_2) | instskip(NEXT) | instid1(VALU_DEP_2)
	v_sub_co_u32 v7, vcc_lo, v5, v7
	v_add3_u32 v8, v8, v11, v10
	s_delay_alu instid0(VALU_DEP_1) | instskip(SKIP_1) | instid1(VALU_DEP_1)
	v_sub_nc_u32_e32 v10, v6, v8
	s_wait_alu 0xfffd
	v_subrev_co_ci_u32_e64 v10, s2, s19, v10, vcc_lo
	v_add_co_u32 v11, s2, v4, 2
	s_wait_alu 0xf1ff
	v_add_co_ci_u32_e64 v12, s2, 0, v9, s2
	v_sub_co_u32 v13, s2, v7, s18
	v_sub_co_ci_u32_e32 v8, vcc_lo, v6, v8, vcc_lo
	s_wait_alu 0xf1ff
	v_subrev_co_ci_u32_e64 v10, s2, 0, v10, s2
	s_delay_alu instid0(VALU_DEP_3) | instskip(NEXT) | instid1(VALU_DEP_3)
	v_cmp_le_u32_e32 vcc_lo, s18, v13
	v_cmp_eq_u32_e64 s2, s19, v8
	s_wait_alu 0xfffd
	v_cndmask_b32_e64 v13, 0, -1, vcc_lo
	v_cmp_le_u32_e32 vcc_lo, s19, v10
	s_wait_alu 0xfffd
	v_cndmask_b32_e64 v14, 0, -1, vcc_lo
	v_cmp_le_u32_e32 vcc_lo, s18, v7
	;; [unrolled: 3-line block ×3, first 2 shown]
	s_wait_alu 0xfffd
	v_cndmask_b32_e64 v15, 0, -1, vcc_lo
	v_cmp_eq_u32_e32 vcc_lo, s19, v10
	s_wait_alu 0xf1ff
	s_delay_alu instid0(VALU_DEP_2)
	v_cndmask_b32_e64 v7, v15, v7, s2
	s_wait_alu 0xfffd
	v_cndmask_b32_e32 v10, v14, v13, vcc_lo
	v_add_co_u32 v13, vcc_lo, v4, 1
	s_wait_alu 0xfffd
	v_add_co_ci_u32_e32 v14, vcc_lo, 0, v9, vcc_lo
	s_delay_alu instid0(VALU_DEP_3) | instskip(SKIP_2) | instid1(VALU_DEP_3)
	v_cmp_ne_u32_e32 vcc_lo, 0, v10
	s_wait_alu 0xfffd
	v_cndmask_b32_e32 v10, v13, v11, vcc_lo
	v_cndmask_b32_e32 v8, v14, v12, vcc_lo
	v_cmp_ne_u32_e32 vcc_lo, 0, v7
	s_wait_alu 0xfffd
	s_delay_alu instid0(VALU_DEP_2)
	v_dual_cndmask_b32 v7, v4, v10 :: v_dual_cndmask_b32 v8, v9, v8
.LBB0_4:                                ;   in Loop: Header=BB0_2 Depth=1
	s_wait_alu 0xfffe
	s_and_not1_saveexec_b32 s2, s20
	s_cbranch_execz .LBB0_6
; %bb.5:                                ;   in Loop: Header=BB0_2 Depth=1
	v_cvt_f32_u32_e32 v4, s18
	s_sub_co_i32 s20, 0, s18
	s_delay_alu instid0(VALU_DEP_1) | instskip(NEXT) | instid1(TRANS32_DEP_1)
	v_rcp_iflag_f32_e32 v4, v4
	v_mul_f32_e32 v4, 0x4f7ffffe, v4
	s_delay_alu instid0(VALU_DEP_1) | instskip(SKIP_1) | instid1(VALU_DEP_1)
	v_cvt_u32_f32_e32 v4, v4
	s_wait_alu 0xfffe
	v_mul_lo_u32 v7, s20, v4
	s_delay_alu instid0(VALU_DEP_1) | instskip(NEXT) | instid1(VALU_DEP_1)
	v_mul_hi_u32 v7, v4, v7
	v_add_nc_u32_e32 v4, v4, v7
	s_delay_alu instid0(VALU_DEP_1) | instskip(NEXT) | instid1(VALU_DEP_1)
	v_mul_hi_u32 v4, v5, v4
	v_mul_lo_u32 v7, v4, s18
	v_add_nc_u32_e32 v8, 1, v4
	s_delay_alu instid0(VALU_DEP_2) | instskip(NEXT) | instid1(VALU_DEP_1)
	v_sub_nc_u32_e32 v7, v5, v7
	v_subrev_nc_u32_e32 v9, s18, v7
	v_cmp_le_u32_e32 vcc_lo, s18, v7
	s_wait_alu 0xfffd
	s_delay_alu instid0(VALU_DEP_2) | instskip(NEXT) | instid1(VALU_DEP_1)
	v_dual_cndmask_b32 v7, v7, v9 :: v_dual_cndmask_b32 v4, v4, v8
	v_cmp_le_u32_e32 vcc_lo, s18, v7
	s_delay_alu instid0(VALU_DEP_2) | instskip(SKIP_1) | instid1(VALU_DEP_1)
	v_add_nc_u32_e32 v8, 1, v4
	s_wait_alu 0xfffd
	v_dual_cndmask_b32 v7, v4, v8 :: v_dual_mov_b32 v8, v3
.LBB0_6:                                ;   in Loop: Header=BB0_2 Depth=1
	s_wait_alu 0xfffe
	s_or_b32 exec_lo, exec_lo, s2
	s_load_b64 s[20:21], s[12:13], 0x0
	s_delay_alu instid0(VALU_DEP_1)
	v_mul_lo_u32 v4, v8, s18
	v_mul_lo_u32 v11, v7, s19
	v_mad_co_u64_u32 v[9:10], null, v7, s18, 0
	s_add_nc_u64 s[14:15], s[14:15], 1
	s_add_nc_u64 s[12:13], s[12:13], 8
	s_wait_alu 0xfffe
	v_cmp_ge_u64_e64 s2, s[14:15], s[6:7]
	s_add_nc_u64 s[16:17], s[16:17], 8
	s_delay_alu instid0(VALU_DEP_2) | instskip(NEXT) | instid1(VALU_DEP_3)
	v_add3_u32 v4, v10, v11, v4
	v_sub_co_u32 v5, vcc_lo, v5, v9
	s_wait_alu 0xfffd
	s_delay_alu instid0(VALU_DEP_2) | instskip(SKIP_3) | instid1(VALU_DEP_2)
	v_sub_co_ci_u32_e32 v4, vcc_lo, v6, v4, vcc_lo
	s_and_b32 vcc_lo, exec_lo, s2
	s_wait_kmcnt 0x0
	v_mul_lo_u32 v6, s21, v5
	v_mul_lo_u32 v4, s20, v4
	v_mad_co_u64_u32 v[1:2], null, s20, v5, v[1:2]
	s_delay_alu instid0(VALU_DEP_1)
	v_add3_u32 v2, v6, v2, v4
	s_wait_alu 0xfffe
	s_cbranch_vccnz .LBB0_9
; %bb.7:                                ;   in Loop: Header=BB0_2 Depth=1
	v_dual_mov_b32 v5, v7 :: v_dual_mov_b32 v6, v8
	s_branch .LBB0_2
.LBB0_8:
	v_dual_mov_b32 v8, v6 :: v_dual_mov_b32 v7, v5
.LBB0_9:
	s_lshl_b64 s[2:3], s[6:7], 3
	v_mul_hi_u32 v5, 0x11bb4a5, v0
	s_wait_alu 0xfffe
	s_add_nc_u64 s[2:3], s[10:11], s[2:3]
                                        ; implicit-def: $vgpr34_vgpr35
                                        ; implicit-def: $vgpr26_vgpr27
                                        ; implicit-def: $vgpr30_vgpr31
                                        ; implicit-def: $vgpr22_vgpr23
                                        ; implicit-def: $vgpr18_vgpr19
	s_load_b64 s[2:3], s[2:3], 0x0
	s_load_b64 s[0:1], s[0:1], 0x20
	s_wait_kmcnt 0x0
	v_mul_lo_u32 v3, s2, v8
	v_mul_lo_u32 v4, s3, v7
	v_mad_co_u64_u32 v[1:2], null, s2, v7, v[1:2]
	v_cmp_gt_u64_e32 vcc_lo, s[0:1], v[7:8]
	s_delay_alu instid0(VALU_DEP_2) | instskip(SKIP_1) | instid1(VALU_DEP_2)
	v_add3_u32 v2, v4, v2, v3
	v_mul_u32_u24_e32 v3, 0xe7, v5
	v_lshlrev_b64_e32 v[40:41], 4, v[1:2]
	s_delay_alu instid0(VALU_DEP_2)
	v_sub_nc_u32_e32 v42, v0, v3
                                        ; implicit-def: $vgpr2_vgpr3
	s_and_saveexec_b32 s1, vcc_lo
; %bb.10:
	v_mov_b32_e32 v43, 0
	s_delay_alu instid0(VALU_DEP_3) | instskip(SKIP_2) | instid1(VALU_DEP_3)
	v_add_co_u32 v2, s0, s8, v40
	s_wait_alu 0xf1ff
	v_add_co_ci_u32_e64 v3, s0, s9, v41, s0
	v_lshlrev_b64_e32 v[0:1], 4, v[42:43]
	s_delay_alu instid0(VALU_DEP_1) | instskip(SKIP_1) | instid1(VALU_DEP_2)
	v_add_co_u32 v4, s0, v2, v0
	s_wait_alu 0xf1ff
	v_add_co_ci_u32_e64 v5, s0, v3, v1, s0
	s_clause 0x5
	global_load_b128 v[16:19], v[4:5], off
	global_load_b128 v[20:23], v[4:5], off offset:3696
	global_load_b128 v[0:3], v[4:5], off offset:11088
	global_load_b128 v[24:27], v[4:5], off offset:7392
	global_load_b128 v[28:31], v[4:5], off offset:14784
	global_load_b128 v[32:35], v[4:5], off offset:18480
; %bb.11:
	s_wait_alu 0xfffe
	s_or_b32 exec_lo, exec_lo, s1
	s_wait_loadcnt 0x1
	v_add_f64_e64 v[10:11], v[20:21], -v[28:29]
	v_add_f64_e64 v[6:7], v[16:17], -v[0:1]
	s_wait_loadcnt 0x0
	v_add_f64_e64 v[14:15], v[24:25], -v[32:33]
	v_add_nc_u32_e32 v63, 0xe7, v42
	v_lshl_add_u32 v28, v42, 4, 0
	v_cmp_gt_u32_e64 s0, 0xc6, v42
	v_lshlrev_b32_e32 v29, 3, v42
	s_delay_alu instid0(VALU_DEP_4) | instskip(NEXT) | instid1(VALU_DEP_4)
	v_lshl_add_u32 v32, v63, 4, 0
	v_add_nc_u32_e32 v33, 0x1ce0, v28
	v_fma_f64 v[8:9], v[20:21], 2.0, -v[10:11]
	v_fma_f64 v[4:5], v[16:17], 2.0, -v[6:7]
	;; [unrolled: 1-line block ×3, first 2 shown]
                                        ; implicit-def: $vgpr16_vgpr17
	ds_store_b128 v32, v[8:11]
	ds_store_b128 v28, v[4:7]
	ds_store_b128 v28, v[12:15] offset:7392
	global_wb scope:SCOPE_SE
	s_wait_dscnt 0x0
	s_barrier_signal -1
	s_barrier_wait -1
	global_inv scope:SCOPE_SE
	s_and_saveexec_b32 s1, s0
	s_cbranch_execz .LBB0_13
; %bb.12:
	v_sub_nc_u32_e32 v0, v28, v29
	s_delay_alu instid0(VALU_DEP_1)
	v_add_nc_u32_e32 v1, 0xc00, v0
	v_add_nc_u32_e32 v12, 0x1800, v0
	ds_load_2addr_b64 v[4:7], v0 offset1:198
	ds_load_2addr_b64 v[8:11], v1 offset0:12 offset1:210
	ds_load_2addr_b64 v[12:15], v12 offset0:24 offset1:222
	ds_load_b64 v[16:17], v0 offset:9504
.LBB0_13:
	s_wait_alu 0xfffe
	s_or_b32 exec_lo, exec_lo, s1
	v_add_f64_e64 v[2:3], v[18:19], -v[2:3]
	v_add_f64_e64 v[20:21], v[22:23], -v[30:31]
	;; [unrolled: 1-line block ×3, first 2 shown]
	global_wb scope:SCOPE_SE
	s_wait_dscnt 0x0
	s_barrier_signal -1
	s_barrier_wait -1
	global_inv scope:SCOPE_SE
	v_fma_f64 v[0:1], v[18:19], 2.0, -v[2:3]
	v_fma_f64 v[18:19], v[22:23], 2.0, -v[20:21]
	v_fma_f64 v[22:23], v[26:27], 2.0, -v[24:25]
	ds_store_b128 v28, v[0:3]
	ds_store_b128 v32, v[18:21]
	;; [unrolled: 1-line block ×3, first 2 shown]
	global_wb scope:SCOPE_SE
	s_wait_dscnt 0x0
	s_barrier_signal -1
	s_barrier_wait -1
	global_inv scope:SCOPE_SE
                                        ; implicit-def: $vgpr32_vgpr33
	s_and_saveexec_b32 s1, s0
	s_cbranch_execz .LBB0_15
; %bb.14:
	v_sub_nc_u32_e32 v26, v28, v29
	s_delay_alu instid0(VALU_DEP_1)
	v_add_nc_u32_e32 v18, 0xc00, v26
	v_add_nc_u32_e32 v22, 0x1800, v26
	ds_load_2addr_b64 v[0:3], v26 offset1:198
	ds_load_2addr_b64 v[18:21], v18 offset0:12 offset1:210
	ds_load_2addr_b64 v[22:25], v22 offset0:24 offset1:222
	ds_load_b64 v[32:33], v26 offset:9504
.LBB0_15:
	s_wait_alu 0xfffe
	s_or_b32 exec_lo, exec_lo, s1
	v_and_b32_e32 v57, 1, v42
	s_mov_b32 s10, 0x37e14327
	s_mov_b32 s14, 0xb247c609
	;; [unrolled: 1-line block ×4, first 2 shown]
	v_mul_u32_u24_e32 v26, 6, v57
	s_mov_b32 s6, 0x36b3c0b5
	s_mov_b32 s2, 0xe976ee23
	;; [unrolled: 1-line block ×4, first 2 shown]
	v_lshlrev_b32_e32 v26, 4, v26
	s_mov_b32 s3, 0x3fe11646
	s_mov_b32 s17, 0xbff2aaaa
	;; [unrolled: 1-line block ×4, first 2 shown]
	s_clause 0x5
	global_load_b128 v[34:37], v26, s[4:5]
	global_load_b128 v[43:46], v26, s[4:5] offset:16
	global_load_b128 v[47:50], v26, s[4:5] offset:80
	;; [unrolled: 1-line block ×5, first 2 shown]
	global_wb scope:SCOPE_SE
	s_wait_loadcnt_dscnt 0x0
	s_barrier_signal -1
	s_barrier_wait -1
	global_inv scope:SCOPE_SE
	v_mul_f64_e32 v[26:27], v[2:3], v[36:37]
	v_mul_f64_e32 v[28:29], v[18:19], v[45:46]
	;; [unrolled: 1-line block ×9, first 2 shown]
	v_fma_f64 v[26:27], v[6:7], v[34:35], v[26:27]
	v_fma_f64 v[6:7], v[8:9], v[43:44], v[28:29]
	;; [unrolled: 1-line block ×4, first 2 shown]
	v_mul_f64_e32 v[38:39], v[12:13], v[66:67]
	v_mul_f64_e32 v[8:9], v[8:9], v[45:46]
	;; [unrolled: 1-line block ×3, first 2 shown]
	v_fma_f64 v[30:31], v[2:3], v[34:35], -v[36:37]
	v_fma_f64 v[2:3], v[10:11], v[58:59], v[55:56]
	v_fma_f64 v[14:15], v[20:21], v[58:59], -v[60:61]
	v_fma_f64 v[10:11], v[12:13], v[64:65], v[68:69]
	v_fma_f64 v[20:21], v[32:33], v[47:48], -v[49:50]
	v_lshrrev_b32_e32 v58, 1, v42
	v_add_f64_e32 v[32:33], v[26:27], v[28:29]
	v_add_f64_e32 v[34:35], v[6:7], v[16:17]
	v_fma_f64 v[12:13], v[22:23], v[64:65], -v[38:39]
	v_fma_f64 v[18:19], v[18:19], v[43:44], -v[8:9]
	v_fma_f64 v[22:23], v[24:25], v[51:52], -v[45:46]
	v_add_f64_e32 v[8:9], v[2:3], v[10:11]
	v_add_f64_e64 v[24:25], v[30:31], -v[20:21]
	v_add_f64_e32 v[38:39], v[34:35], v[32:33]
	v_add_f64_e64 v[45:46], v[12:13], -v[14:15]
	v_add_f64_e64 v[36:37], v[18:19], -v[22:23]
	;; [unrolled: 1-line block ×4, first 2 shown]
	v_add_f64_e32 v[49:50], v[8:9], v[38:39]
	v_add_f64_e64 v[51:52], v[24:25], -v[45:46]
	v_add_f64_e32 v[8:9], v[45:46], v[36:37]
	v_add_f64_e64 v[45:46], v[45:46], -v[36:37]
	v_mul_f64_e32 v[38:39], s[10:11], v[47:48]
	v_add_f64_e32 v[4:5], v[4:5], v[49:50]
	s_wait_alu 0xfffe
	v_mul_f64_e32 v[53:54], s[14:15], v[51:52]
	v_add_f64_e32 v[55:56], v[8:9], v[24:25]
	s_delay_alu instid0(VALU_DEP_4) | instskip(NEXT) | instid1(VALU_DEP_4)
	v_fma_f64 v[8:9], v[43:44], s[6:7], v[38:39]
	v_fma_f64 v[49:50], v[49:50], s[16:17], v[4:5]
	s_delay_alu instid0(VALU_DEP_4) | instskip(NEXT) | instid1(VALU_DEP_2)
	v_fma_f64 v[51:52], v[45:46], s[2:3], v[53:54]
	v_add_f64_e32 v[47:48], v[8:9], v[49:50]
	s_delay_alu instid0(VALU_DEP_2) | instskip(NEXT) | instid1(VALU_DEP_1)
	v_fma_f64 v[51:52], v[55:56], s[12:13], v[51:52]
	v_add_f64_e64 v[8:9], v[47:48], -v[51:52]
	s_and_saveexec_b32 s1, s0
	s_cbranch_execz .LBB0_17
; %bb.16:
	v_add_f64_e64 v[32:33], v[34:35], -v[32:33]
	v_add_f64_e64 v[24:25], v[36:37], -v[24:25]
	v_mul_f64_e32 v[34:35], s[2:3], v[45:46]
	v_mul_f64_e32 v[36:37], s[6:7], v[43:44]
	s_mov_b32 s19, 0xbfe77f67
	s_mov_b32 s18, 0x5476071b
	;; [unrolled: 1-line block ×4, first 2 shown]
	v_mul_f64_e32 v[43:44], s[12:13], v[55:56]
	s_wait_alu 0xfffe
	v_fma_f64 v[38:39], v[32:33], s[18:19], -v[38:39]
	v_fma_f64 v[45:46], v[24:25], s[20:21], -v[53:54]
	s_mov_b32 s21, 0xbfebfeb5
	s_mov_b32 s19, 0x3fe77f67
	s_wait_alu 0xfffe
	v_fma_f64 v[24:25], v[24:25], s[20:21], -v[34:35]
	v_fma_f64 v[32:33], v[32:33], s[18:19], -v[36:37]
	s_delay_alu instid0(VALU_DEP_4) | instskip(NEXT) | instid1(VALU_DEP_4)
	v_add_f64_e32 v[34:35], v[38:39], v[49:50]
	v_add_f64_e32 v[36:37], v[43:44], v[45:46]
	v_add_f64_e32 v[38:39], v[51:52], v[47:48]
	v_add_f64_e32 v[24:25], v[43:44], v[24:25]
	v_add_f64_e32 v[32:33], v[32:33], v[49:50]
	s_delay_alu instid0(VALU_DEP_4) | instskip(SKIP_1) | instid1(VALU_DEP_3)
	v_add_f64_e64 v[43:44], v[34:35], -v[36:37]
	v_add_f64_e32 v[34:35], v[36:37], v[34:35]
	v_add_f64_e64 v[36:37], v[32:33], -v[24:25]
	v_add_f64_e32 v[24:25], v[24:25], v[32:33]
	v_mul_u32_u24_e32 v32, 14, v58
	s_delay_alu instid0(VALU_DEP_1) | instskip(NEXT) | instid1(VALU_DEP_1)
	v_or_b32_e32 v32, v32, v57
	v_lshl_add_u32 v32, v32, 3, 0
	ds_store_2addr_b64 v32, v[4:5], v[38:39] offset1:2
	ds_store_2addr_b64 v32, v[34:35], v[36:37] offset0:4 offset1:6
	ds_store_2addr_b64 v32, v[24:25], v[43:44] offset0:8 offset1:10
	ds_store_b64 v32, v[8:9] offset:96
.LBB0_17:
	s_wait_alu 0xfffe
	s_or_b32 exec_lo, exec_lo, s1
	v_add_f64_e32 v[20:21], v[30:31], v[20:21]
	v_add_f64_e32 v[32:33], v[18:19], v[22:23]
	v_add_f64_e64 v[26:27], v[26:27], -v[28:29]
	v_add_f64_e32 v[4:5], v[14:15], v[12:13]
	v_add_f64_e64 v[2:3], v[10:11], -v[2:3]
	v_add_f64_e64 v[34:35], v[6:7], -v[16:17]
	v_lshl_add_u32 v64, v42, 3, 0
	global_wb scope:SCOPE_SE
	s_wait_dscnt 0x0
	s_barrier_signal -1
	s_barrier_wait -1
	global_inv scope:SCOPE_SE
	v_add_nc_u32_e32 v46, 0xe00, v64
	v_add_nc_u32_e32 v47, 0x1c80, v64
	v_add_f64_e32 v[12:13], v[32:33], v[20:21]
	v_add_f64_e64 v[6:7], v[20:21], -v[4:5]
	v_add_f64_e64 v[14:15], v[26:27], -v[2:3]
	;; [unrolled: 1-line block ×4, first 2 shown]
	v_add_f64_e32 v[12:13], v[4:5], v[12:13]
	v_add_f64_e32 v[4:5], v[2:3], v[34:35]
	v_mul_f64_e32 v[28:29], s[10:11], v[6:7]
	v_mul_f64_e32 v[18:19], s[14:15], v[14:15]
	s_delay_alu instid0(VALU_DEP_4) | instskip(NEXT) | instid1(VALU_DEP_4)
	v_add_f64_e32 v[10:11], v[0:1], v[12:13]
	v_add_f64_e32 v[43:44], v[4:5], v[26:27]
	s_delay_alu instid0(VALU_DEP_4) | instskip(NEXT) | instid1(VALU_DEP_4)
	v_fma_f64 v[0:1], v[38:39], s[6:7], v[28:29]
	v_fma_f64 v[2:3], v[36:37], s[2:3], v[18:19]
	s_delay_alu instid0(VALU_DEP_4) | instskip(NEXT) | instid1(VALU_DEP_2)
	v_fma_f64 v[22:23], v[12:13], s[16:17], v[10:11]
	v_fma_f64 v[30:31], v[43:44], s[12:13], v[2:3]
	s_delay_alu instid0(VALU_DEP_2)
	v_add_f64_e32 v[24:25], v[0:1], v[22:23]
	ds_load_2addr_b64 v[0:3], v64 offset1:231
	ds_load_2addr_b64 v[4:7], v46 offset0:14 offset1:245
	ds_load_2addr_b64 v[14:17], v47 offset0:12 offset1:243
	global_wb scope:SCOPE_SE
	s_wait_dscnt 0x0
	s_barrier_signal -1
	s_barrier_wait -1
	global_inv scope:SCOPE_SE
	v_add_f64_e32 v[12:13], v[30:31], v[24:25]
	s_and_saveexec_b32 s1, s0
	s_cbranch_execz .LBB0_19
; %bb.18:
	v_mul_f64_e32 v[38:39], s[6:7], v[38:39]
	v_add_f64_e64 v[20:21], v[32:33], -v[20:21]
	v_mul_f64_e32 v[32:33], s[2:3], v[36:37]
	v_add_f64_e64 v[26:27], v[34:35], -v[26:27]
	s_mov_b32 s3, 0x3fe77f67
	s_mov_b32 s2, 0x5476071b
	s_mov_b32 s7, 0xbfebfeb5
	s_mov_b32 s6, 0x429ad128
	v_mul_f64_e32 v[34:35], s[12:13], v[43:44]
	s_wait_alu 0xfffe
	s_delay_alu instid0(VALU_DEP_4) | instskip(SKIP_1) | instid1(VALU_DEP_3)
	v_fma_f64 v[36:37], v[20:21], s[2:3], -v[38:39]
	s_mov_b32 s3, 0xbfe77f67
	v_fma_f64 v[32:33], v[26:27], s[6:7], -v[32:33]
	s_mov_b32 s7, 0x3febfeb5
	s_wait_alu 0xfffe
	v_fma_f64 v[20:21], v[20:21], s[2:3], -v[28:29]
	v_fma_f64 v[18:19], v[26:27], s[6:7], -v[18:19]
	s_delay_alu instid0(VALU_DEP_4) | instskip(NEXT) | instid1(VALU_DEP_4)
	v_add_f64_e32 v[26:27], v[36:37], v[22:23]
	v_add_f64_e32 v[28:29], v[34:35], v[32:33]
	s_delay_alu instid0(VALU_DEP_4) | instskip(NEXT) | instid1(VALU_DEP_4)
	v_add_f64_e32 v[20:21], v[20:21], v[22:23]
	v_add_f64_e32 v[18:19], v[34:35], v[18:19]
	v_add_f64_e64 v[22:23], v[24:25], -v[30:31]
	s_delay_alu instid0(VALU_DEP_4) | instskip(SKIP_1) | instid1(VALU_DEP_4)
	v_add_f64_e32 v[24:25], v[28:29], v[26:27]
	v_add_f64_e64 v[26:27], v[26:27], -v[28:29]
	v_add_f64_e64 v[28:29], v[20:21], -v[18:19]
	v_add_f64_e32 v[18:19], v[18:19], v[20:21]
	v_mul_u32_u24_e32 v20, 14, v58
	s_delay_alu instid0(VALU_DEP_1) | instskip(NEXT) | instid1(VALU_DEP_1)
	v_or_b32_e32 v20, v20, v57
	v_lshl_add_u32 v20, v20, 3, 0
	ds_store_2addr_b64 v20, v[10:11], v[22:23] offset1:2
	ds_store_2addr_b64 v20, v[28:29], v[24:25] offset0:4 offset1:6
	ds_store_2addr_b64 v20, v[26:27], v[18:19] offset0:8 offset1:10
	ds_store_b64 v20, v[12:13] offset:96
.LBB0_19:
	s_wait_alu 0xfffe
	s_or_b32 exec_lo, exec_lo, s1
	v_lshrrev_b16 v10, 1, v42
	v_lshrrev_b16 v11, 1, v63
	global_wb scope:SCOPE_SE
	s_wait_dscnt 0x0
	s_barrier_signal -1
	s_barrier_wait -1
	v_and_b32_e32 v45, 0x7f, v10
	v_and_b32_e32 v10, 0xffff, v11
	global_inv scope:SCOPE_SE
	s_mov_b32 s2, 0xe8584caa
	s_mov_b32 s3, 0xbfebb67a
	v_mul_lo_u16 v11, 0x93, v45
	v_mul_u32_u24_e32 v10, 0x4925, v10
	s_mov_b32 s7, 0x3febb67a
	s_wait_alu 0xfffe
	s_mov_b32 s6, s2
	v_cmp_gt_u32_e64 s0, 0x7e, v42
	v_lshrrev_b16 v60, 10, v11
	v_lshrrev_b32_e32 v61, 17, v10
	s_delay_alu instid0(VALU_DEP_2) | instskip(NEXT) | instid1(VALU_DEP_2)
	v_mul_lo_u16 v10, v60, 14
	v_mul_lo_u16 v11, v61, 14
	s_delay_alu instid0(VALU_DEP_2) | instskip(NEXT) | instid1(VALU_DEP_2)
	v_sub_nc_u16 v10, v42, v10
	v_sub_nc_u16 v11, v63, v11
	s_delay_alu instid0(VALU_DEP_2) | instskip(NEXT) | instid1(VALU_DEP_2)
	v_and_b32_e32 v62, 0xff, v10
	v_and_b32_e32 v65, 0xffff, v11
	s_delay_alu instid0(VALU_DEP_2) | instskip(NEXT) | instid1(VALU_DEP_2)
	v_lshlrev_b32_e32 v10, 5, v62
	v_lshlrev_b32_e32 v11, 5, v65
	s_clause 0x3
	global_load_b128 v[18:21], v10, s[4:5] offset:192
	global_load_b128 v[22:25], v10, s[4:5] offset:208
	;; [unrolled: 1-line block ×4, first 2 shown]
	ds_load_2addr_b64 v[48:51], v46 offset0:14 offset1:245
	ds_load_2addr_b64 v[52:55], v47 offset0:12 offset1:243
	s_wait_loadcnt_dscnt 0x301
	v_mul_f64_e32 v[10:11], v[48:49], v[20:21]
	s_wait_loadcnt_dscnt 0x200
	v_mul_f64_e32 v[30:31], v[52:53], v[24:25]
	s_wait_loadcnt 0x1
	v_mul_f64_e32 v[43:44], v[50:51], v[28:29]
	s_wait_loadcnt 0x0
	v_mul_f64_e32 v[46:47], v[54:55], v[38:39]
	v_mul_f64_e32 v[20:21], v[4:5], v[20:21]
	v_mul_f64_e32 v[24:25], v[14:15], v[24:25]
	v_mul_f64_e32 v[56:57], v[6:7], v[28:29]
	v_mul_f64_e32 v[58:59], v[16:17], v[38:39]
	v_fma_f64 v[32:33], v[4:5], v[18:19], v[10:11]
	v_fma_f64 v[34:35], v[14:15], v[22:23], v[30:31]
	;; [unrolled: 1-line block ×4, first 2 shown]
	v_fma_f64 v[38:39], v[48:49], v[18:19], -v[20:21]
	v_fma_f64 v[28:29], v[52:53], v[22:23], -v[24:25]
	;; [unrolled: 1-line block ×4, first 2 shown]
	v_mul_u32_u24_e32 v24, 0x150, v61
	v_lshlrev_b32_e32 v25, 3, v65
                                        ; implicit-def: $vgpr26_vgpr27
	s_delay_alu instid0(VALU_DEP_1)
	v_add3_u32 v47, 0, v24, v25
	v_add_f64_e32 v[10:11], v[0:1], v[32:33]
	v_add_f64_e32 v[4:5], v[32:33], v[34:35]
	;; [unrolled: 1-line block ×4, first 2 shown]
	v_add_f64_e64 v[16:17], v[38:39], -v[28:29]
	v_add_f64_e64 v[22:23], v[43:44], -v[36:37]
	v_fma_f64 v[0:1], v[4:5], -0.5, v[0:1]
	v_add_f64_e32 v[4:5], v[10:11], v[34:35]
	v_fma_f64 v[2:3], v[6:7], -0.5, v[2:3]
	v_add_f64_e32 v[18:19], v[18:19], v[30:31]
	v_and_b32_e32 v10, 0xffff, v60
	v_lshlrev_b32_e32 v11, 3, v62
                                        ; implicit-def: $vgpr59_vgpr60
	s_delay_alu instid0(VALU_DEP_2) | instskip(NEXT) | instid1(VALU_DEP_1)
	v_mul_u32_u24_e32 v10, 0x150, v10
	v_add3_u32 v46, 0, v10, v11
	v_fma_f64 v[6:7], v[16:17], s[2:3], v[0:1]
	s_wait_alu 0xfffe
	v_fma_f64 v[16:17], v[16:17], s[6:7], v[0:1]
	v_fma_f64 v[20:21], v[22:23], s[2:3], v[2:3]
	;; [unrolled: 1-line block ×3, first 2 shown]
	ds_load_2addr_b64 v[0:3], v64 offset1:231
	global_wb scope:SCOPE_SE
	s_wait_dscnt 0x0
	s_barrier_signal -1
	s_barrier_wait -1
	global_inv scope:SCOPE_SE
	ds_store_2addr_b64 v46, v[4:5], v[6:7] offset1:14
	ds_store_b64 v46, v[16:17] offset:224
	ds_store_2addr_b64 v47, v[18:19], v[20:21] offset1:14
	ds_store_b64 v47, v[22:23] offset:224
	global_wb scope:SCOPE_SE
	s_wait_dscnt 0x0
	s_barrier_signal -1
	s_barrier_wait -1
	global_inv scope:SCOPE_SE
	s_and_saveexec_b32 s1, s0
	s_cbranch_execz .LBB0_21
; %bb.20:
	v_add_nc_u32_e32 v8, 0x400, v64
	v_add_nc_u32_e32 v9, 0xc00, v64
	;; [unrolled: 1-line block ×4, first 2 shown]
	ds_load_2addr_b64 v[4:7], v64 offset1:126
	ds_load_2addr_b64 v[16:19], v8 offset0:124 offset1:250
	ds_load_2addr_b64 v[20:23], v9 offset0:120 offset1:246
	;; [unrolled: 1-line block ×4, first 2 shown]
	ds_load_b64 v[59:60], v64 offset:10080
.LBB0_21:
	s_wait_alu 0xfffe
	s_or_b32 exec_lo, exec_lo, s1
	v_add_f64_e32 v[48:49], v[38:39], v[28:29]
	v_add_f64_e32 v[50:51], v[43:44], v[36:37]
	;; [unrolled: 1-line block ×3, first 2 shown]
	v_add_f64_e64 v[32:33], v[32:33], -v[34:35]
	v_add_f64_e32 v[34:35], v[2:3], v[43:44]
	v_add_f64_e64 v[14:15], v[14:15], -v[30:31]
	global_wb scope:SCOPE_SE
	s_wait_dscnt 0x0
	s_barrier_signal -1
	s_barrier_wait -1
	global_inv scope:SCOPE_SE
                                        ; implicit-def: $vgpr61_vgpr62
	v_fma_f64 v[43:44], v[48:49], -0.5, v[0:1]
	v_fma_f64 v[48:49], v[50:51], -0.5, v[2:3]
	v_add_f64_e32 v[0:1], v[38:39], v[28:29]
                                        ; implicit-def: $vgpr38_vgpr39
	v_add_f64_e32 v[30:31], v[34:35], v[36:37]
	s_delay_alu instid0(VALU_DEP_4)
	v_fma_f64 v[2:3], v[32:33], s[6:7], v[43:44]
	v_fma_f64 v[28:29], v[32:33], s[2:3], v[43:44]
	;; [unrolled: 1-line block ×4, first 2 shown]
	ds_store_2addr_b64 v46, v[0:1], v[2:3] offset1:14
	ds_store_b64 v46, v[28:29] offset:224
	ds_store_2addr_b64 v47, v[30:31], v[32:33] offset1:14
	ds_store_b64 v47, v[34:35] offset:224
	global_wb scope:SCOPE_SE
	s_wait_dscnt 0x0
	s_barrier_signal -1
	s_barrier_wait -1
	global_inv scope:SCOPE_SE
	s_and_saveexec_b32 s1, s0
	s_cbranch_execz .LBB0_23
; %bb.22:
	v_add_nc_u32_e32 v12, 0x400, v64
	v_add_nc_u32_e32 v13, 0xc00, v64
	;; [unrolled: 1-line block ×4, first 2 shown]
	ds_load_2addr_b64 v[0:3], v64 offset1:126
	ds_load_2addr_b64 v[28:31], v12 offset0:124 offset1:250
	ds_load_2addr_b64 v[32:35], v13 offset0:120 offset1:246
	;; [unrolled: 1-line block ×4, first 2 shown]
	ds_load_b64 v[61:62], v64 offset:10080
.LBB0_23:
	s_wait_alu 0xfffe
	s_or_b32 exec_lo, exec_lo, s1
	v_mul_lo_u16 v43, v45, 49
	s_delay_alu instid0(VALU_DEP_1) | instskip(NEXT) | instid1(VALU_DEP_1)
	v_lshrrev_b16 v113, 10, v43
	v_mul_lo_u16 v43, v113, 42
	s_delay_alu instid0(VALU_DEP_1) | instskip(NEXT) | instid1(VALU_DEP_1)
	v_sub_nc_u16 v43, v42, v43
	v_and_b32_e32 v114, 0xff, v43
	s_delay_alu instid0(VALU_DEP_1) | instskip(NEXT) | instid1(VALU_DEP_1)
	v_mul_u32_u24_e32 v43, 10, v114
	v_lshlrev_b32_e32 v47, 4, v43
	s_clause 0x9
	global_load_b128 v[43:46], v47, s[4:5] offset:656
	global_load_b128 v[51:54], v47, s[4:5] offset:672
	;; [unrolled: 1-line block ×10, first 2 shown]
	global_wb scope:SCOPE_SE
	s_wait_loadcnt_dscnt 0x0
	s_barrier_signal -1
	s_barrier_wait -1
	global_inv scope:SCOPE_SE
	v_mul_f64_e32 v[47:48], v[28:29], v[45:46]
	v_mul_f64_e32 v[45:46], v[16:17], v[45:46]
	;; [unrolled: 1-line block ×20, first 2 shown]
	v_fma_f64 v[49:50], v[16:17], v[43:44], v[47:48]
	v_fma_f64 v[53:54], v[28:29], v[43:44], -v[45:46]
	v_fma_f64 v[47:48], v[18:19], v[51:52], v[93:94]
	v_fma_f64 v[51:52], v[30:31], v[51:52], -v[95:96]
	;; [unrolled: 2-line block ×10, first 2 shown]
	v_and_b32_e32 v38, 0xffff, v113
	v_lshlrev_b32_e32 v39, 3, v114
	s_and_saveexec_b32 s1, s0
	s_cbranch_execz .LBB0_25
; %bb.24:
	v_add_f64_e32 v[2:3], v[4:5], v[55:56]
	v_add_f64_e64 v[6:7], v[45:46], -v[28:29]
	v_add_f64_e64 v[8:9], v[57:58], -v[14:15]
	;; [unrolled: 1-line block ×4, first 2 shown]
	s_mov_b32 s18, 0xbb3a28a1
	s_mov_b32 s22, 0xfd768dbf
	;; [unrolled: 1-line block ×7, first 2 shown]
	v_add_f64_e64 v[59:60], v[53:54], -v[16:17]
	s_mov_b32 s20, 0xf8bb580b
	s_mov_b32 s15, 0xbfefac9e
	;; [unrolled: 1-line block ×3, first 2 shown]
	v_add_f64_e32 v[61:62], v[55:56], v[36:37]
	s_mov_b32 s25, 0xbfe14ced
	s_wait_alu 0xfffe
	s_mov_b32 s24, s20
	s_mov_b32 s2, 0x7f775887
	;; [unrolled: 1-line block ×13, first 2 shown]
	v_add_f64_e32 v[79:80], v[49:50], v[26:27]
	v_add_f64_e32 v[2:3], v[2:3], v[49:50]
	v_mul_f64_e32 v[65:66], s[16:17], v[6:7]
	v_mul_f64_e32 v[67:68], s[22:23], v[8:9]
	;; [unrolled: 1-line block ×5, first 2 shown]
	s_mov_b32 s17, 0xbfed1bb4
	v_mul_f64_e32 v[75:76], s[14:15], v[8:9]
	s_wait_alu 0xfffe
	v_mul_f64_e32 v[77:78], s[24:25], v[8:9]
	v_mul_f64_e32 v[8:9], s[16:17], v[8:9]
	;; [unrolled: 1-line block ×9, first 2 shown]
	s_mov_b32 s16, 0x8764f0ba
	s_mov_b32 s17, 0x3feaeb8c
	v_mul_f64_e32 v[103:104], s[28:29], v[12:13]
	v_mul_f64_e32 v[12:13], s[14:15], v[12:13]
	;; [unrolled: 1-line block ×4, first 2 shown]
	v_add_f64_e32 v[2:3], v[2:3], v[47:48]
	v_fma_f64 v[89:90], v[61:62], s[12:13], -v[67:68]
	v_fma_f64 v[67:68], v[61:62], s[12:13], v[67:68]
	v_fma_f64 v[91:92], v[61:62], s[2:3], -v[71:72]
	v_fma_f64 v[71:72], v[61:62], s[2:3], v[71:72]
	;; [unrolled: 2-line block ×3, first 2 shown]
	s_wait_alu 0xfffe
	v_fma_f64 v[95:96], v[61:62], s[16:17], v[77:78]
	v_fma_f64 v[97:98], v[61:62], s[6:7], v[8:9]
	v_fma_f64 v[8:9], v[61:62], s[6:7], -v[8:9]
	v_fma_f64 v[61:62], v[61:62], s[16:17], -v[77:78]
	v_add_f64_e32 v[77:78], v[47:48], v[24:25]
	v_fma_f64 v[105:106], v[79:80], s[16:17], -v[81:82]
	v_fma_f64 v[81:82], v[79:80], s[16:17], v[81:82]
	v_fma_f64 v[107:108], v[79:80], s[10:11], -v[83:84]
	v_fma_f64 v[83:84], v[79:80], s[10:11], v[83:84]
	;; [unrolled: 2-line block ×5, first 2 shown]
	v_add_f64_e32 v[2:3], v[2:3], v[43:44]
	v_add_f64_e32 v[79:80], v[4:5], v[89:90]
	v_add_f64_e32 v[67:68], v[4:5], v[67:68]
	v_add_f64_e32 v[89:90], v[4:5], v[91:92]
	v_add_f64_e32 v[71:72], v[4:5], v[71:72]
	v_add_f64_e32 v[91:92], v[4:5], v[93:94]
	v_add_f64_e32 v[75:76], v[4:5], v[75:76]
	v_add_f64_e32 v[93:94], v[4:5], v[95:96]
	v_add_f64_e32 v[95:96], v[4:5], v[97:98]
	v_add_f64_e32 v[8:9], v[4:5], v[8:9]
	v_add_f64_e32 v[4:5], v[4:5], v[61:62]
	v_add_f64_e32 v[61:62], v[43:44], v[34:35]
	v_mul_f64_e32 v[97:98], s[22:23], v[6:7]
	v_mul_f64_e32 v[6:7], s[18:19], v[6:7]
	v_fma_f64 v[119:120], v[77:78], s[2:3], -v[99:100]
	v_fma_f64 v[99:100], v[77:78], s[2:3], v[99:100]
	v_fma_f64 v[121:122], v[77:78], s[16:17], -v[101:102]
	v_fma_f64 v[101:102], v[77:78], s[16:17], v[101:102]
	v_fma_f64 v[123:124], v[77:78], s[6:7], -v[73:74]
	v_fma_f64 v[73:74], v[77:78], s[6:7], v[73:74]
	v_fma_f64 v[125:126], v[77:78], s[12:13], -v[103:104]
	v_fma_f64 v[103:104], v[77:78], s[12:13], v[103:104]
	v_fma_f64 v[127:128], v[77:78], s[10:11], -v[12:13]
	v_fma_f64 v[12:13], v[77:78], s[10:11], v[12:13]
	v_add_f64_e32 v[2:3], v[2:3], v[20:21]
	v_add_f64_e32 v[77:78], v[105:106], v[79:80]
	;; [unrolled: 1-line block ×5, first 2 shown]
	v_mul_f64_e32 v[89:90], s[18:19], v[10:11]
	v_add_f64_e32 v[81:82], v[109:110], v[91:92]
	v_add_f64_e32 v[75:76], v[85:86], v[75:76]
	;; [unrolled: 1-line block ×7, first 2 shown]
	v_mul_f64_e32 v[87:88], s[14:15], v[10:11]
	v_fma_f64 v[93:94], v[61:62], s[6:7], -v[65:66]
	v_fma_f64 v[65:66], v[61:62], s[6:7], v[65:66]
	v_fma_f64 v[95:96], v[61:62], s[12:13], -v[97:98]
	v_fma_f64 v[97:98], v[61:62], s[12:13], v[97:98]
	;; [unrolled: 2-line block ×5, first 2 shown]
	v_mul_f64_e32 v[91:92], s[20:21], v[10:11]
	v_mul_f64_e32 v[10:11], s[22:23], v[10:11]
	v_add_f64_e32 v[2:3], v[2:3], v[22:23]
	v_add_f64_e32 v[61:62], v[119:120], v[77:78]
	;; [unrolled: 1-line block ×11, first 2 shown]
	v_fma_f64 v[83:84], v[85:86], s[6:7], -v[69:70]
	v_fma_f64 v[75:76], v[85:86], s[10:11], -v[87:88]
	v_fma_f64 v[81:82], v[85:86], s[10:11], v[87:88]
	v_fma_f64 v[69:70], v[85:86], s[6:7], v[69:70]
	v_fma_f64 v[87:88], v[85:86], s[2:3], -v[89:90]
	v_fma_f64 v[89:90], v[85:86], s[2:3], v[89:90]
	v_fma_f64 v[99:100], v[85:86], s[16:17], -v[91:92]
	v_fma_f64 v[91:92], v[85:86], s[16:17], v[91:92]
	v_fma_f64 v[101:102], v[85:86], s[12:13], -v[10:11]
	v_fma_f64 v[10:11], v[85:86], s[12:13], v[10:11]
	v_add_f64_e32 v[2:3], v[2:3], v[34:35]
	v_add_f64_e32 v[61:62], v[93:94], v[61:62]
	;; [unrolled: 1-line block ×22, first 2 shown]
	v_mul_u32_u24_e32 v12, 0xe70, v38
	s_delay_alu instid0(VALU_DEP_1) | instskip(NEXT) | instid1(VALU_DEP_1)
	v_add3_u32 v12, 0, v12, v39
	v_add_nc_u32_e32 v13, 0x400, v12
	v_add_nc_u32_e32 v73, 0x800, v12
	v_add_f64_e32 v[2:3], v[2:3], v[26:27]
	s_delay_alu instid0(VALU_DEP_1)
	v_add_f64_e32 v[2:3], v[2:3], v[36:37]
	ds_store_2addr_b64 v12, v[67:68], v[61:62] offset0:168 offset1:210
	ds_store_2addr_b64 v13, v[59:60], v[65:66] offset0:124 offset1:166
	;; [unrolled: 1-line block ×4, first 2 shown]
	ds_store_2addr_b64 v12, v[2:3], v[6:7] offset1:42
	ds_store_b64 v12, v[4:5] offset:3360
.LBB0_25:
	s_wait_alu 0xfffe
	s_or_b32 exec_lo, exec_lo, s1
	v_add_nc_u32_e32 v6, 0xe00, v64
	v_add_nc_u32_e32 v10, 0x1c80, v64
	global_wb scope:SCOPE_SE
	s_wait_dscnt 0x0
	s_barrier_signal -1
	s_barrier_wait -1
	global_inv scope:SCOPE_SE
	ds_load_2addr_b64 v[2:5], v64 offset1:231
	ds_load_2addr_b64 v[6:9], v6 offset0:14 offset1:245
	ds_load_2addr_b64 v[10:13], v10 offset0:12 offset1:243
	global_wb scope:SCOPE_SE
	s_wait_dscnt 0x0
	s_barrier_signal -1
	s_barrier_wait -1
	global_inv scope:SCOPE_SE
	s_and_saveexec_b32 s33, s0
	s_cbranch_execz .LBB0_27
; %bb.26:
	v_add_f64_e32 v[59:60], v[0:1], v[57:58]
	v_add_f64_e32 v[57:58], v[57:58], v[14:15]
	s_mov_b32 s26, 0x8764f0ba
	s_mov_b32 s22, 0xd9c712b6
	;; [unrolled: 1-line block ×10, first 2 shown]
	v_add_f64_e64 v[36:37], v[55:56], -v[36:37]
	s_mov_b32 s10, 0xf8bb580b
	s_mov_b32 s0, 0x8eee2c13
	s_mov_b32 s6, 0x43842ef
	s_mov_b32 s11, 0x3fe14ced
	s_mov_b32 s1, 0x3fed1bb4
	s_mov_b32 s13, 0xbfed1bb4
	s_mov_b32 s7, 0x3fefac9e
	s_mov_b32 s16, 0xbb3a28a1
	s_mov_b32 s28, 0xfd768dbf
	s_wait_alu 0xfffe
	s_mov_b32 s12, s0
	s_mov_b32 s17, 0x3fe82f19
	;; [unrolled: 1-line block ×6, first 2 shown]
	v_add_f64_e64 v[26:27], v[49:50], -v[26:27]
	s_mov_b32 s30, s28
	s_mov_b32 s3, 0xbfefac9e
	;; [unrolled: 1-line block ×5, first 2 shown]
	v_add_f64_e64 v[24:25], v[47:48], -v[24:25]
	v_add_f64_e64 v[34:35], v[43:44], -v[34:35]
	;; [unrolled: 1-line block ×3, first 2 shown]
	v_add_f64_e32 v[59:60], v[59:60], v[53:54]
	v_add_f64_e32 v[53:54], v[53:54], v[16:17]
	v_mul_f64_e32 v[55:56], s[26:27], v[57:58]
	v_mul_f64_e32 v[61:62], s[22:23], v[57:58]
	;; [unrolled: 1-line block ×5, first 2 shown]
	v_add_f64_e32 v[59:60], v[59:60], v[51:52]
	v_add_f64_e32 v[51:52], v[51:52], v[18:19]
	v_mul_f64_e32 v[49:50], s[22:23], v[53:54]
	v_mul_f64_e32 v[69:70], s[24:25], v[53:54]
	;; [unrolled: 1-line block ×5, first 2 shown]
	v_fma_f64 v[75:76], v[36:37], s[10:11], v[55:56]
	v_fma_f64 v[77:78], v[36:37], s[0:1], v[61:62]
	s_wait_alu 0xfffe
	v_fma_f64 v[61:62], v[36:37], s[12:13], v[61:62]
	v_fma_f64 v[79:80], v[36:37], s[6:7], v[65:66]
	;; [unrolled: 1-line block ×8, first 2 shown]
	v_add_f64_e32 v[59:60], v[59:60], v[45:46]
	v_add_f64_e32 v[45:46], v[45:46], v[28:29]
	v_mul_f64_e32 v[47:48], s[20:21], v[51:52]
	v_mul_f64_e32 v[55:56], s[34:35], v[51:52]
	;; [unrolled: 1-line block ×5, first 2 shown]
	v_fma_f64 v[89:90], v[26:27], s[0:1], v[49:50]
	v_fma_f64 v[49:50], v[26:27], s[12:13], v[49:50]
	;; [unrolled: 1-line block ×10, first 2 shown]
	v_add_f64_e32 v[53:54], v[0:1], v[75:76]
	v_add_f64_e32 v[75:76], v[0:1], v[77:78]
	;; [unrolled: 1-line block ×12, first 2 shown]
	v_mul_f64_e32 v[36:37], s[20:21], v[45:46]
	v_mul_f64_e32 v[43:44], s[26:27], v[45:46]
	;; [unrolled: 1-line block ×3, first 2 shown]
	v_fma_f64 v[99:100], v[24:25], s[6:7], v[47:48]
	v_fma_f64 v[47:48], v[24:25], s[2:3], v[47:48]
	;; [unrolled: 1-line block ×10, first 2 shown]
	v_add_f64_e32 v[51:52], v[89:90], v[53:54]
	v_add_f64_e32 v[53:54], v[91:92], v[75:76]
	v_add_f64_e32 v[61:62], v[69:70], v[61:62]
	v_add_f64_e32 v[69:70], v[93:94], v[77:78]
	v_add_f64_e32 v[75:76], v[95:96], v[79:80]
	v_add_f64_e32 v[67:68], v[73:74], v[67:68]
	v_add_f64_e32 v[73:74], v[97:98], v[81:82]
	v_add_f64_e32 v[26:27], v[26:27], v[57:58]
	v_add_f64_e32 v[57:58], v[71:72], v[65:66]
	v_add_f64_e32 v[0:1], v[49:50], v[0:1]
	v_add_f64_e32 v[59:60], v[59:60], v[32:33]
	v_mul_f64_e32 v[32:33], s[24:25], v[45:46]
	v_mul_f64_e32 v[45:46], s[22:23], v[45:46]
	;; [unrolled: 1-line block ×5, first 2 shown]
	v_fma_f64 v[77:78], v[34:35], s[2:3], v[36:37]
	v_fma_f64 v[36:37], v[34:35], s[6:7], v[36:37]
	;; [unrolled: 1-line block ×6, first 2 shown]
	v_add_f64_e32 v[67:68], v[87:88], v[67:68]
	v_add_f64_e32 v[24:25], v[24:25], v[26:27]
	;; [unrolled: 1-line block ×5, first 2 shown]
	v_mul_f64_e32 v[59:60], s[24:25], v[30:31]
	v_mul_f64_e32 v[30:31], s[20:21], v[30:31]
	v_fma_f64 v[71:72], v[34:35], s[16:17], v[32:33]
	v_fma_f64 v[32:33], v[34:35], s[18:19], v[32:33]
	;; [unrolled: 1-line block ×4, first 2 shown]
	v_add_f64_e32 v[45:46], v[99:100], v[51:52]
	v_add_f64_e32 v[51:52], v[101:102], v[53:54]
	;; [unrolled: 1-line block ×6, first 2 shown]
	v_fma_f64 v[47:48], v[20:21], s[14:15], v[49:50]
	v_fma_f64 v[49:50], v[20:21], s[10:11], v[49:50]
	;; [unrolled: 1-line block ×4, first 2 shown]
	v_add_f64_e32 v[26:27], v[43:44], v[26:27]
	v_add_f64_e32 v[18:19], v[28:29], v[18:19]
	v_fma_f64 v[28:29], v[20:21], s[28:29], v[22:23]
	v_fma_f64 v[22:23], v[20:21], s[30:31], v[22:23]
	;; [unrolled: 1-line block ×6, first 2 shown]
	v_add_f64_e32 v[30:31], v[71:72], v[45:46]
	v_add_f64_e32 v[45:46], v[77:78], v[51:52]
	;; [unrolled: 1-line block ×21, first 2 shown]
	v_mul_u32_u24_e32 v16, 0xe70, v38
	s_delay_alu instid0(VALU_DEP_1) | instskip(NEXT) | instid1(VALU_DEP_1)
	v_add3_u32 v16, 0, v16, v39
	v_add_nc_u32_e32 v17, 0x400, v16
	v_add_nc_u32_e32 v22, 0x800, v16
	ds_store_2addr_b64 v16, v[28:29], v[32:33] offset0:84 offset1:126
	ds_store_2addr_b64 v16, v[34:35], v[43:44] offset0:168 offset1:210
	;; [unrolled: 1-line block ×4, first 2 shown]
	ds_store_2addr_b64 v16, v[14:15], v[18:19] offset1:42
	ds_store_b64 v16, v[0:1] offset:3360
.LBB0_27:
	s_or_b32 exec_lo, exec_lo, s33
	global_wb scope:SCOPE_SE
	s_wait_dscnt 0x0
	s_barrier_signal -1
	s_barrier_wait -1
	global_inv scope:SCOPE_SE
	s_and_saveexec_b32 s0, vcc_lo
	s_cbranch_execz .LBB0_29
; %bb.28:
	v_dual_mov_b32 v38, 0 :: v_dual_lshlrev_b32 v37, 1, v63
	v_lshlrev_b32_e32 v0, 1, v42
	s_mov_b32 s0, 0xe8584caa
	s_mov_b32 s1, 0xbfebb67a
	s_delay_alu instid0(VALU_DEP_2)
	v_mov_b32_e32 v1, v38
	v_lshlrev_b64_e32 v[14:15], 4, v[37:38]
	s_mov_b32 s3, 0x3febb67a
	s_wait_alu 0xfffe
	s_mov_b32 s2, s0
	v_lshrrev_b32_e32 v39, 1, v63
	v_lshlrev_b64_e32 v[0:1], 4, v[0:1]
	v_add_co_u32 v18, vcc_lo, s4, v14
	s_wait_alu 0xfffd
	v_add_co_ci_u32_e32 v19, vcc_lo, s5, v15, vcc_lo
	s_delay_alu instid0(VALU_DEP_3)
	v_add_co_u32 v0, vcc_lo, s4, v0
	s_wait_alu 0xfffd
	v_add_co_ci_u32_e32 v1, vcc_lo, s5, v1, vcc_lo
	s_clause 0x3
	global_load_b128 v[14:17], v[18:19], off offset:7360
	global_load_b128 v[18:21], v[18:19], off offset:7376
	;; [unrolled: 1-line block ×4, first 2 shown]
	v_add_nc_u32_e32 v0, 0xe00, v64
	v_add_nc_u32_e32 v1, 0x1c80, v64
	ds_load_2addr_b64 v[30:33], v0 offset0:14 offset1:245
	ds_load_2addr_b64 v[34:37], v1 offset0:12 offset1:243
	s_wait_loadcnt 0x3
	v_mul_f64_e32 v[0:1], v[8:9], v[16:17]
	s_wait_loadcnt 0x2
	v_mul_f64_e32 v[43:44], v[12:13], v[20:21]
	;; [unrolled: 2-line block ×4, first 2 shown]
	s_wait_dscnt 0x1
	v_mul_f64_e32 v[24:25], v[30:31], v[24:25]
	s_wait_dscnt 0x0
	v_mul_f64_e32 v[28:29], v[34:35], v[28:29]
	v_mul_f64_e32 v[16:17], v[32:33], v[16:17]
	;; [unrolled: 1-line block ×3, first 2 shown]
	v_fma_f64 v[0:1], v[32:33], v[14:15], -v[0:1]
	v_fma_f64 v[32:33], v[36:37], v[18:19], -v[43:44]
	;; [unrolled: 1-line block ×4, first 2 shown]
	v_fma_f64 v[22:23], v[6:7], v[22:23], v[24:25]
	v_fma_f64 v[10:11], v[10:11], v[26:27], v[28:29]
	;; [unrolled: 1-line block ×4, first 2 shown]
	ds_load_2addr_b64 v[6:9], v64 offset1:231
	s_wait_dscnt 0x0
	v_add_f64_e32 v[28:29], v[8:9], v[0:1]
	v_add_f64_e32 v[16:17], v[0:1], v[32:33]
	;; [unrolled: 1-line block ×4, first 2 shown]
	v_add_f64_e64 v[30:31], v[30:31], -v[34:35]
	v_add_f64_e32 v[20:21], v[22:23], v[10:11]
	v_add_f64_e64 v[36:37], v[22:23], -v[10:11]
	v_add_f64_e32 v[24:25], v[14:15], v[12:13]
	v_add_f64_e32 v[22:23], v[2:3], v[22:23]
	v_add_f64_e64 v[26:27], v[14:15], -v[12:13]
	v_add_f64_e32 v[14:15], v[4:5], v[14:15]
	v_add_f64_e64 v[45:46], v[0:1], -v[32:33]
	v_fma_f64 v[8:9], v[16:17], -0.5, v[8:9]
	v_fma_f64 v[16:17], v[18:19], -0.5, v[6:7]
	v_add_f64_e32 v[6:7], v[43:44], v[34:35]
	v_mov_b32_e32 v43, v38
	v_fma_f64 v[20:21], v[20:21], -0.5, v[2:3]
	v_fma_f64 v[24:25], v[24:25], -0.5, v[4:5]
	v_add_f64_e32 v[4:5], v[22:23], v[10:11]
	v_add_f64_e32 v[2:3], v[28:29], v[32:33]
	;; [unrolled: 1-line block ×3, first 2 shown]
	v_add_co_u32 v28, vcc_lo, s8, v40
	s_wait_alu 0xfffd
	v_add_co_ci_u32_e32 v29, vcc_lo, s9, v41, vcc_lo
	s_wait_alu 0xfffe
	v_fma_f64 v[22:23], v[26:27], s[2:3], v[8:9]
	v_fma_f64 v[10:11], v[26:27], s[0:1], v[8:9]
	;; [unrolled: 1-line block ×8, first 2 shown]
	v_mul_hi_u32 v24, 0x8dda5203, v39
	s_delay_alu instid0(VALU_DEP_1) | instskip(SKIP_1) | instid1(VALU_DEP_2)
	v_lshrrev_b32_e32 v26, 7, v24
	v_lshlrev_b64_e32 v[24:25], 4, v[42:43]
	v_mul_u32_u24_e32 v37, 0x39c, v26
	s_delay_alu instid0(VALU_DEP_2) | instskip(SKIP_1) | instid1(VALU_DEP_3)
	v_add_co_u32 v24, vcc_lo, v28, v24
	s_wait_alu 0xfffd
	v_add_co_ci_u32_e32 v25, vcc_lo, v29, v25, vcc_lo
	s_delay_alu instid0(VALU_DEP_3) | instskip(NEXT) | instid1(VALU_DEP_1)
	v_lshlrev_b64_e32 v[26:27], 4, v[37:38]
	v_add_co_u32 v26, vcc_lo, v24, v26
	s_wait_alu 0xfffd
	s_delay_alu instid0(VALU_DEP_2)
	v_add_co_ci_u32_e32 v27, vcc_lo, v25, v27, vcc_lo
	s_clause 0x5
	global_store_b128 v[24:25], v[4:7], off
	global_store_b128 v[24:25], v[16:19], off offset:7392
	global_store_b128 v[24:25], v[12:15], off offset:14784
	;; [unrolled: 1-line block ×5, first 2 shown]
.LBB0_29:
	s_nop 0
	s_sendmsg sendmsg(MSG_DEALLOC_VGPRS)
	s_endpgm
	.section	.rodata,"a",@progbits
	.p2align	6, 0x0
	.amdhsa_kernel fft_rtc_back_len1386_factors_2_7_3_11_3_wgs_231_tpt_231_halfLds_dp_ip_CI_unitstride_sbrr_dirReg
		.amdhsa_group_segment_fixed_size 0
		.amdhsa_private_segment_fixed_size 0
		.amdhsa_kernarg_size 88
		.amdhsa_user_sgpr_count 2
		.amdhsa_user_sgpr_dispatch_ptr 0
		.amdhsa_user_sgpr_queue_ptr 0
		.amdhsa_user_sgpr_kernarg_segment_ptr 1
		.amdhsa_user_sgpr_dispatch_id 0
		.amdhsa_user_sgpr_private_segment_size 0
		.amdhsa_wavefront_size32 1
		.amdhsa_uses_dynamic_stack 0
		.amdhsa_enable_private_segment 0
		.amdhsa_system_sgpr_workgroup_id_x 1
		.amdhsa_system_sgpr_workgroup_id_y 0
		.amdhsa_system_sgpr_workgroup_id_z 0
		.amdhsa_system_sgpr_workgroup_info 0
		.amdhsa_system_vgpr_workitem_id 0
		.amdhsa_next_free_vgpr 129
		.amdhsa_next_free_sgpr 36
		.amdhsa_reserve_vcc 1
		.amdhsa_float_round_mode_32 0
		.amdhsa_float_round_mode_16_64 0
		.amdhsa_float_denorm_mode_32 3
		.amdhsa_float_denorm_mode_16_64 3
		.amdhsa_fp16_overflow 0
		.amdhsa_workgroup_processor_mode 1
		.amdhsa_memory_ordered 1
		.amdhsa_forward_progress 0
		.amdhsa_round_robin_scheduling 0
		.amdhsa_exception_fp_ieee_invalid_op 0
		.amdhsa_exception_fp_denorm_src 0
		.amdhsa_exception_fp_ieee_div_zero 0
		.amdhsa_exception_fp_ieee_overflow 0
		.amdhsa_exception_fp_ieee_underflow 0
		.amdhsa_exception_fp_ieee_inexact 0
		.amdhsa_exception_int_div_zero 0
	.end_amdhsa_kernel
	.text
.Lfunc_end0:
	.size	fft_rtc_back_len1386_factors_2_7_3_11_3_wgs_231_tpt_231_halfLds_dp_ip_CI_unitstride_sbrr_dirReg, .Lfunc_end0-fft_rtc_back_len1386_factors_2_7_3_11_3_wgs_231_tpt_231_halfLds_dp_ip_CI_unitstride_sbrr_dirReg
                                        ; -- End function
	.section	.AMDGPU.csdata,"",@progbits
; Kernel info:
; codeLenInByte = 7752
; NumSgprs: 38
; NumVgprs: 129
; ScratchSize: 0
; MemoryBound: 1
; FloatMode: 240
; IeeeMode: 1
; LDSByteSize: 0 bytes/workgroup (compile time only)
; SGPRBlocks: 4
; VGPRBlocks: 16
; NumSGPRsForWavesPerEU: 38
; NumVGPRsForWavesPerEU: 129
; Occupancy: 10
; WaveLimiterHint : 1
; COMPUTE_PGM_RSRC2:SCRATCH_EN: 0
; COMPUTE_PGM_RSRC2:USER_SGPR: 2
; COMPUTE_PGM_RSRC2:TRAP_HANDLER: 0
; COMPUTE_PGM_RSRC2:TGID_X_EN: 1
; COMPUTE_PGM_RSRC2:TGID_Y_EN: 0
; COMPUTE_PGM_RSRC2:TGID_Z_EN: 0
; COMPUTE_PGM_RSRC2:TIDIG_COMP_CNT: 0
	.text
	.p2alignl 7, 3214868480
	.fill 96, 4, 3214868480
	.type	__hip_cuid_d0fab9e613f3cf,@object ; @__hip_cuid_d0fab9e613f3cf
	.section	.bss,"aw",@nobits
	.globl	__hip_cuid_d0fab9e613f3cf
__hip_cuid_d0fab9e613f3cf:
	.byte	0                               ; 0x0
	.size	__hip_cuid_d0fab9e613f3cf, 1

	.ident	"AMD clang version 19.0.0git (https://github.com/RadeonOpenCompute/llvm-project roc-6.4.0 25133 c7fe45cf4b819c5991fe208aaa96edf142730f1d)"
	.section	".note.GNU-stack","",@progbits
	.addrsig
	.addrsig_sym __hip_cuid_d0fab9e613f3cf
	.amdgpu_metadata
---
amdhsa.kernels:
  - .args:
      - .actual_access:  read_only
        .address_space:  global
        .offset:         0
        .size:           8
        .value_kind:     global_buffer
      - .offset:         8
        .size:           8
        .value_kind:     by_value
      - .actual_access:  read_only
        .address_space:  global
        .offset:         16
        .size:           8
        .value_kind:     global_buffer
      - .actual_access:  read_only
        .address_space:  global
        .offset:         24
        .size:           8
        .value_kind:     global_buffer
      - .offset:         32
        .size:           8
        .value_kind:     by_value
      - .actual_access:  read_only
        .address_space:  global
        .offset:         40
        .size:           8
        .value_kind:     global_buffer
      - .actual_access:  read_only
        .address_space:  global
        .offset:         48
        .size:           8
        .value_kind:     global_buffer
      - .offset:         56
        .size:           4
        .value_kind:     by_value
      - .actual_access:  read_only
        .address_space:  global
        .offset:         64
        .size:           8
        .value_kind:     global_buffer
      - .actual_access:  read_only
        .address_space:  global
        .offset:         72
        .size:           8
        .value_kind:     global_buffer
      - .address_space:  global
        .offset:         80
        .size:           8
        .value_kind:     global_buffer
    .group_segment_fixed_size: 0
    .kernarg_segment_align: 8
    .kernarg_segment_size: 88
    .language:       OpenCL C
    .language_version:
      - 2
      - 0
    .max_flat_workgroup_size: 231
    .name:           fft_rtc_back_len1386_factors_2_7_3_11_3_wgs_231_tpt_231_halfLds_dp_ip_CI_unitstride_sbrr_dirReg
    .private_segment_fixed_size: 0
    .sgpr_count:     38
    .sgpr_spill_count: 0
    .symbol:         fft_rtc_back_len1386_factors_2_7_3_11_3_wgs_231_tpt_231_halfLds_dp_ip_CI_unitstride_sbrr_dirReg.kd
    .uniform_work_group_size: 1
    .uses_dynamic_stack: false
    .vgpr_count:     129
    .vgpr_spill_count: 0
    .wavefront_size: 32
    .workgroup_processor_mode: 1
amdhsa.target:   amdgcn-amd-amdhsa--gfx1201
amdhsa.version:
  - 1
  - 2
...

	.end_amdgpu_metadata
